;; amdgpu-corpus repo=ROCm/rocFFT kind=compiled arch=gfx906 opt=O3
	.text
	.amdgcn_target "amdgcn-amd-amdhsa--gfx906"
	.amdhsa_code_object_version 6
	.protected	fft_rtc_back_len72_factors_2_3_3_4_wgs_64_tpt_8_dim1_sp_op_CI_CI_unitstride_sbrr_C2R_dirReg ; -- Begin function fft_rtc_back_len72_factors_2_3_3_4_wgs_64_tpt_8_dim1_sp_op_CI_CI_unitstride_sbrr_C2R_dirReg
	.globl	fft_rtc_back_len72_factors_2_3_3_4_wgs_64_tpt_8_dim1_sp_op_CI_CI_unitstride_sbrr_C2R_dirReg
	.p2align	8
	.type	fft_rtc_back_len72_factors_2_3_3_4_wgs_64_tpt_8_dim1_sp_op_CI_CI_unitstride_sbrr_C2R_dirReg,@function
fft_rtc_back_len72_factors_2_3_3_4_wgs_64_tpt_8_dim1_sp_op_CI_CI_unitstride_sbrr_C2R_dirReg: ; @fft_rtc_back_len72_factors_2_3_3_4_wgs_64_tpt_8_dim1_sp_op_CI_CI_unitstride_sbrr_C2R_dirReg
; %bb.0:
	s_load_dwordx4 s[8:11], s[4:5], 0x18
	v_lshrrev_b32_e32 v1, 3, v0
	v_lshl_or_b32 v22, s6, 3, v1
	v_mov_b32_e32 v23, 0
	v_and_b32_e32 v20, 7, v0
	s_waitcnt lgkmcnt(0)
	v_cmp_gt_u64_e32 vcc, s[10:11], v[22:23]
	v_cmp_le_u64_e64 s[0:1], s[10:11], v[22:23]
	s_and_saveexec_b64 s[2:3], s[0:1]
	s_xor_b64 s[0:1], exec, s[2:3]
; %bb.1:
	v_and_b32_e32 v20, 7, v0
; %bb.2:
	s_or_saveexec_b64 s[2:3], s[0:1]
	s_load_dwordx2 s[10:11], s[4:5], 0x0
	s_load_dwordx2 s[6:7], s[8:9], 0x8
	v_mul_u32_u24_e32 v30, 0x49, v1
	v_lshlrev_b32_e32 v5, 3, v30
	s_xor_b64 exec, exec, s[2:3]
	s_cbranch_execz .LBB0_6
; %bb.3:
	s_load_dwordx2 s[0:1], s[4:5], 0x10
	s_load_dwordx2 s[8:9], s[4:5], 0x50
	v_lshlrev_b32_e32 v21, 3, v20
	s_waitcnt lgkmcnt(0)
	s_load_dwordx2 s[0:1], s[0:1], 0x8
	s_waitcnt lgkmcnt(0)
	v_mad_u64_u32 v[1:2], s[12:13], s0, v22, 0
	v_mad_u64_u32 v[2:3], s[0:1], s1, v22, v[2:3]
	v_mov_b32_e32 v3, s9
	v_lshlrev_b64 v[1:2], 3, v[1:2]
	v_add_co_u32_e64 v1, s[0:1], s8, v1
	v_addc_co_u32_e64 v2, s[0:1], v3, v2, s[0:1]
	v_add_co_u32_e64 v3, s[0:1], v1, v21
	v_addc_co_u32_e64 v4, s[0:1], 0, v2, s[0:1]
	global_load_dwordx2 v[6:7], v[3:4], off
	global_load_dwordx2 v[8:9], v[3:4], off offset:64
	global_load_dwordx2 v[10:11], v[3:4], off offset:128
	;; [unrolled: 1-line block ×8, first 2 shown]
	v_add3_u32 v3, 0, v5, v21
	v_cmp_eq_u32_e64 s[0:1], 7, v20
	s_waitcnt vmcnt(7)
	ds_write2_b64 v3, v[6:7], v[8:9] offset1:8
	s_waitcnt vmcnt(5)
	ds_write2_b64 v3, v[10:11], v[12:13] offset0:16 offset1:24
	s_waitcnt vmcnt(3)
	ds_write2_b64 v3, v[14:15], v[16:17] offset0:32 offset1:40
	;; [unrolled: 2-line block ×3, first 2 shown]
	s_waitcnt vmcnt(0)
	ds_write_b64 v3, v[25:26] offset:512
	s_and_saveexec_b64 s[8:9], s[0:1]
	s_cbranch_execz .LBB0_5
; %bb.4:
	global_load_dwordx2 v[1:2], v[1:2], off offset:576
	v_mov_b32_e32 v20, 7
	s_waitcnt vmcnt(0)
	ds_write_b64 v3, v[1:2] offset:520
.LBB0_5:
	s_or_b64 exec, exec, s[8:9]
.LBB0_6:
	s_or_b64 exec, exec, s[2:3]
	v_lshl_add_u32 v29, v30, 3, 0
	v_lshlrev_b32_e32 v7, 3, v20
	v_add_u32_e32 v6, v29, v7
	s_waitcnt lgkmcnt(0)
	; wave barrier
	s_waitcnt lgkmcnt(0)
	v_sub_u32_e32 v8, v29, v7
	ds_read_b32 v9, v6
	ds_read_b32 v10, v8 offset:576
	v_cmp_ne_u32_e64 s[0:1], 0, v20
                                        ; implicit-def: $vgpr1_vgpr2
	s_waitcnt lgkmcnt(0)
	v_add_f32_e32 v3, v10, v9
	v_sub_f32_e32 v4, v9, v10
	s_and_saveexec_b64 s[2:3], s[0:1]
	s_xor_b64 s[2:3], exec, s[2:3]
	s_cbranch_execz .LBB0_8
; %bb.7:
	v_mov_b32_e32 v21, 0
	v_lshlrev_b64 v[1:2], 3, v[20:21]
	v_mov_b32_e32 v3, s11
	v_add_co_u32_e64 v1, s[0:1], s10, v1
	v_addc_co_u32_e64 v2, s[0:1], v3, v2, s[0:1]
	global_load_dwordx2 v[1:2], v[1:2], off offset:560
	ds_read_b32 v3, v8 offset:580
	ds_read_b32 v4, v6 offset:4
	v_add_f32_e32 v11, v10, v9
	v_sub_f32_e32 v12, v9, v10
	s_waitcnt lgkmcnt(0)
	v_add_f32_e32 v13, v3, v4
	v_sub_f32_e32 v3, v4, v3
	s_waitcnt vmcnt(0)
	v_fma_f32 v14, v12, v2, v11
	v_fma_f32 v4, v13, v2, v3
	v_fma_f32 v9, -v12, v2, v11
	v_fma_f32 v10, v13, v2, -v3
	v_fma_f32 v3, -v1, v13, v14
	v_fmac_f32_e32 v4, v12, v1
	v_fmac_f32_e32 v9, v1, v13
	v_fmac_f32_e32 v10, v12, v1
	v_mov_b32_e32 v1, v20
	ds_write_b64 v8, v[9:10] offset:576
	v_mov_b32_e32 v2, v21
.LBB0_8:
	s_andn2_saveexec_b64 s[0:1], s[2:3]
	s_cbranch_execz .LBB0_10
; %bb.9:
	ds_read_b64 v[1:2], v29 offset:288
	s_waitcnt lgkmcnt(0)
	v_add_f32_e32 v9, v1, v1
	v_mul_f32_e32 v10, -2.0, v2
	v_mov_b32_e32 v1, 0
	v_mov_b32_e32 v2, 0
	ds_write_b64 v29, v[9:10] offset:288
.LBB0_10:
	s_or_b64 exec, exec, s[0:1]
	s_add_u32 s0, s10, 0x230
	v_lshlrev_b64 v[1:2], 3, v[1:2]
	s_addc_u32 s1, s11, 0
	v_mov_b32_e32 v9, s1
	v_add_co_u32_e64 v1, s[0:1], s0, v1
	v_addc_co_u32_e64 v2, s[0:1], v9, v2, s[0:1]
	global_load_dwordx2 v[9:10], v[1:2], off offset:64
	global_load_dwordx2 v[11:12], v[1:2], off offset:128
	;; [unrolled: 1-line block ×3, first 2 shown]
	ds_write_b64 v6, v[3:4]
	ds_read_b64 v[3:4], v6 offset:64
	ds_read_b64 v[15:16], v8 offset:512
	s_waitcnt lgkmcnt(0)
	v_add_f32_e32 v17, v3, v15
	v_add_f32_e32 v18, v16, v4
	v_sub_f32_e32 v19, v3, v15
	v_sub_f32_e32 v3, v4, v16
	s_waitcnt vmcnt(2)
	v_fma_f32 v21, v19, v10, v17
	v_fma_f32 v4, v18, v10, v3
	v_fma_f32 v15, -v19, v10, v17
	v_fma_f32 v16, v18, v10, -v3
	v_fma_f32 v3, -v9, v18, v21
	v_fmac_f32_e32 v4, v19, v9
	v_fmac_f32_e32 v15, v9, v18
	;; [unrolled: 1-line block ×3, first 2 shown]
	ds_write_b64 v6, v[3:4] offset:64
	ds_write_b64 v8, v[15:16] offset:512
	ds_read_b64 v[3:4], v6 offset:128
	ds_read_b64 v[9:10], v8 offset:448
	s_waitcnt lgkmcnt(0)
	v_add_f32_e32 v15, v3, v9
	v_add_f32_e32 v16, v10, v4
	v_sub_f32_e32 v17, v3, v9
	v_sub_f32_e32 v3, v4, v10
	s_waitcnt vmcnt(1)
	v_fma_f32 v18, v17, v12, v15
	v_fma_f32 v4, v16, v12, v3
	v_fma_f32 v9, -v17, v12, v15
	v_fma_f32 v10, v16, v12, -v3
	v_fma_f32 v3, -v11, v16, v18
	v_fmac_f32_e32 v4, v17, v11
	v_fmac_f32_e32 v9, v11, v16
	;; [unrolled: 1-line block ×3, first 2 shown]
	ds_write_b64 v6, v[3:4] offset:128
	ds_write_b64 v8, v[9:10] offset:448
	ds_read_b64 v[3:4], v6 offset:192
	ds_read_b64 v[9:10], v8 offset:384
	v_or_b32_e32 v11, 32, v20
	v_cmp_gt_u32_e64 s[0:1], 36, v11
	s_waitcnt lgkmcnt(0)
	v_add_f32_e32 v12, v3, v9
	v_add_f32_e32 v15, v10, v4
	v_sub_f32_e32 v16, v3, v9
	v_sub_f32_e32 v3, v4, v10
	s_waitcnt vmcnt(0)
	v_fma_f32 v17, v16, v14, v12
	v_fma_f32 v4, v15, v14, v3
	v_fma_f32 v9, -v16, v14, v12
	v_fma_f32 v10, v15, v14, -v3
	v_fma_f32 v3, -v13, v15, v17
	v_fmac_f32_e32 v4, v16, v13
	v_fmac_f32_e32 v9, v13, v15
	;; [unrolled: 1-line block ×3, first 2 shown]
	ds_write_b64 v6, v[3:4] offset:192
	ds_write_b64 v8, v[9:10] offset:384
	s_and_saveexec_b64 s[2:3], s[0:1]
	s_cbranch_execz .LBB0_12
; %bb.11:
	global_load_dwordx2 v[1:2], v[1:2], off offset:256
	ds_read_b64 v[3:4], v6 offset:256
	ds_read_b64 v[9:10], v8 offset:320
	s_waitcnt lgkmcnt(0)
	v_add_f32_e32 v11, v3, v9
	v_add_f32_e32 v12, v10, v4
	v_sub_f32_e32 v13, v3, v9
	v_sub_f32_e32 v4, v4, v10
	s_waitcnt vmcnt(0)
	v_fma_f32 v14, v13, v2, v11
	v_fma_f32 v3, v12, v2, v4
	v_fma_f32 v9, -v13, v2, v11
	v_fma_f32 v10, v12, v2, -v4
	v_fma_f32 v2, -v1, v12, v14
	v_fmac_f32_e32 v3, v13, v1
	v_fmac_f32_e32 v9, v1, v12
	;; [unrolled: 1-line block ×3, first 2 shown]
	ds_write_b64 v6, v[2:3] offset:256
	ds_write_b64 v8, v[9:10] offset:320
.LBB0_12:
	s_or_b64 exec, exec, s[2:3]
	v_add_u32_e32 v19, 0, v7
	v_add_u32_e32 v21, v19, v5
	s_waitcnt lgkmcnt(0)
	; wave barrier
	s_waitcnt lgkmcnt(0)
	s_waitcnt lgkmcnt(0)
	; wave barrier
	s_waitcnt lgkmcnt(0)
	ds_read2_b64 v[9:12], v21 offset0:36 offset1:44
	ds_read2_b64 v[13:16], v21 offset0:8 offset1:16
	v_or_b32_e32 v8, 8, v20
	v_lshlrev_b32_e32 v31, 4, v8
	v_add3_u32 v31, 0, v31, v5
	v_cmp_gt_u32_e64 s[0:1], 4, v20
	s_waitcnt lgkmcnt(0)
	v_sub_f32_e32 v17, v13, v11
	v_sub_f32_e32 v18, v14, v12
	v_fma_f32 v23, v13, 2.0, -v17
	v_fma_f32 v24, v14, 2.0, -v18
	ds_read_b64 v[25:26], v6
	ds_read_b64 v[27:28], v21 offset:544
	ds_read2_b64 v[11:14], v21 offset0:52 offset1:60
	ds_read2_b64 v[1:4], v21 offset0:24 offset1:32
	s_waitcnt lgkmcnt(0)
	; wave barrier
	s_waitcnt lgkmcnt(0)
	ds_write2_b64 v31, v[23:24], v[17:18] offset1:1
	v_or_b32_e32 v31, 16, v20
	v_sub_f32_e32 v11, v15, v11
	v_sub_f32_e32 v12, v16, v12
	v_lshlrev_b32_e32 v17, 4, v31
	v_fma_f32 v15, v15, 2.0, -v11
	v_fma_f32 v16, v16, 2.0, -v12
	v_add3_u32 v17, 0, v17, v5
	ds_write2_b64 v17, v[15:16], v[11:12] offset1:1
	v_sub_f32_e32 v11, v1, v13
	v_sub_f32_e32 v12, v2, v14
	v_lshlrev_b32_e32 v13, 4, v20
	v_fma_f32 v1, v1, 2.0, -v11
	v_fma_f32 v2, v2, 2.0, -v12
	v_add3_u32 v13, 0, v13, v5
	ds_write2_b64 v13, v[1:2], v[11:12] offset0:48 offset1:49
	v_sub_f32_e32 v9, v25, v9
	v_sub_f32_e32 v10, v26, v10
	v_add_u32_e32 v1, v19, v7
	v_fma_f32 v11, v25, 2.0, -v9
	v_fma_f32 v12, v26, 2.0, -v10
	v_sub_f32_e32 v23, v3, v27
	v_sub_f32_e32 v24, v4, v28
	v_add_u32_e32 v2, v1, v5
	ds_write2_b64 v2, v[11:12], v[9:10] offset1:1
	s_and_saveexec_b64 s[2:3], s[0:1]
	s_cbranch_execz .LBB0_14
; %bb.13:
	v_fma_f32 v4, v4, 2.0, -v24
	v_fma_f32 v3, v3, 2.0, -v23
	ds_write2_b64 v2, v[3:4], v[23:24] offset0:64 offset1:65
.LBB0_14:
	s_or_b64 exec, exec, s[2:3]
	v_and_b32_e32 v4, 1, v0
	v_lshlrev_b32_e32 v0, 4, v4
	s_waitcnt lgkmcnt(0)
	; wave barrier
	s_waitcnt lgkmcnt(0)
	global_load_dwordx4 v[9:12], v0, s[10:11]
	v_sub_u32_e32 v33, v1, v7
	v_add_u32_e32 v32, v33, v5
	ds_read2_b64 v[0:3], v32 offset0:48 offset1:56
	ds_read2_b64 v[13:16], v32 offset0:24 offset1:40
	ds_read_b64 v[17:18], v6
	ds_read_b64 v[25:26], v21 offset:256
	ds_read_b64 v[27:28], v32 offset:512
	v_lshrrev_b32_e32 v7, 1, v20
	v_mul_u32_u24_e32 v7, 6, v7
	v_or_b32_e32 v7, v7, v4
	v_lshlrev_b32_e32 v7, 3, v7
	v_add3_u32 v7, 0, v7, v5
	v_cmp_gt_u32_e64 s[0:1], 6, v20
	s_movk_i32 s2, 0xab
	s_waitcnt vmcnt(0) lgkmcnt(4)
	v_mul_f32_e32 v19, v12, v1
	v_mul_f32_e32 v34, v12, v0
	;; [unrolled: 1-line block ×4, first 2 shown]
	s_waitcnt lgkmcnt(3)
	v_mul_f32_e32 v37, v10, v14
	v_mul_f32_e32 v38, v10, v13
	v_fmac_f32_e32 v19, v11, v0
	v_mul_f32_e32 v0, v10, v15
	v_fma_f32 v34, v11, v1, -v34
	v_fmac_f32_e32 v35, v11, v2
	v_fma_f32 v36, v11, v3, -v36
	v_fmac_f32_e32 v37, v9, v13
	v_fma_f32 v13, v9, v14, -v38
	v_fma_f32 v14, v9, v16, -v0
	ds_read2_b64 v[0:3], v32 offset0:8 offset1:16
	v_mul_f32_e32 v39, v10, v16
	v_fmac_f32_e32 v39, v9, v15
	s_waitcnt lgkmcnt(2)
	v_mul_f32_e32 v15, v10, v26
	v_mul_f32_e32 v10, v10, v25
	s_waitcnt lgkmcnt(1)
	v_mul_f32_e32 v16, v12, v28
	v_fmac_f32_e32 v15, v9, v25
	v_fma_f32 v9, v9, v26, -v10
	v_mul_f32_e32 v10, v12, v27
	v_fmac_f32_e32 v16, v11, v27
	v_fma_f32 v25, v11, v28, -v10
	v_add_f32_e32 v10, v17, v37
	v_add_f32_e32 v26, v37, v19
	v_sub_f32_e32 v27, v13, v34
	v_add_f32_e32 v11, v18, v13
	v_add_f32_e32 v28, v13, v34
	s_waitcnt lgkmcnt(0)
	v_add_f32_e32 v13, v0, v15
	v_sub_f32_e32 v37, v37, v19
	v_sub_f32_e32 v38, v9, v36
	v_add_f32_e32 v12, v1, v9
	v_add_f32_e32 v40, v9, v36
	;; [unrolled: 1-line block ×5, first 2 shown]
	v_sub_f32_e32 v34, v15, v35
	v_add_f32_e32 v11, v13, v35
	v_add_f32_e32 v13, v3, v14
	;; [unrolled: 1-line block ×4, first 2 shown]
	v_fma_f32 v17, -0.5, v26, v17
	v_fmac_f32_e32 v18, -0.5, v28
	v_sub_f32_e32 v41, v14, v25
	v_add_f32_e32 v14, v13, v25
	v_add_f32_e32 v13, v35, v16
	;; [unrolled: 1-line block ×3, first 2 shown]
	v_sub_f32_e32 v35, v39, v16
	v_fmac_f32_e32 v3, -0.5, v15
	v_mov_b32_e32 v15, v17
	v_mov_b32_e32 v16, v18
	v_fmac_f32_e32 v15, 0xbf5db3d7, v27
	v_fmac_f32_e32 v16, 0x3f5db3d7, v37
	s_waitcnt lgkmcnt(0)
	; wave barrier
	v_fmac_f32_e32 v17, 0x3f5db3d7, v27
	v_fmac_f32_e32 v18, 0xbf5db3d7, v37
	ds_write2_b64 v7, v[9:10], v[15:16] offset1:2
	ds_write_b64 v7, v[17:18] offset:32
	v_lshrrev_b32_e32 v7, 1, v8
	v_mul_u32_u24_e32 v7, 6, v7
	v_fma_f32 v0, -0.5, v19, v0
	v_fma_f32 v1, -0.5, v40, v1
	v_or_b32_e32 v7, v7, v4
	v_fma_f32 v2, -0.5, v25, v2
	v_mov_b32_e32 v25, v0
	v_mov_b32_e32 v26, v1
	v_lshlrev_b32_e32 v7, 3, v7
	v_add_f32_e32 v12, v12, v36
	v_fmac_f32_e32 v0, 0x3f5db3d7, v38
	v_fmac_f32_e32 v25, 0xbf5db3d7, v38
	;; [unrolled: 1-line block ×3, first 2 shown]
	v_add3_u32 v7, 0, v7, v5
	v_fmac_f32_e32 v1, 0xbf5db3d7, v34
	ds_write2_b64 v7, v[11:12], v[25:26] offset1:2
	ds_write_b64 v7, v[0:1] offset:32
	v_lshrrev_b32_e32 v0, 1, v31
	v_mul_u32_u24_e32 v0, 6, v0
	v_or_b32_e32 v0, v0, v4
	v_mov_b32_e32 v27, v2
	v_mov_b32_e32 v28, v3
	v_lshlrev_b32_e32 v0, 3, v0
	v_fmac_f32_e32 v27, 0xbf5db3d7, v41
	v_fmac_f32_e32 v28, 0x3f5db3d7, v35
	v_add3_u32 v0, 0, v0, v5
	v_fmac_f32_e32 v2, 0x3f5db3d7, v41
	v_fmac_f32_e32 v3, 0xbf5db3d7, v35
	ds_write2_b64 v0, v[13:14], v[27:28] offset1:2
	ds_write_b64 v0, v[2:3] offset:32
	v_add_u32_e32 v0, -6, v20
	v_cndmask_b32_e64 v4, v0, v20, s[0:1]
	v_mul_lo_u16_sdwa v0, v8, s2 dst_sel:DWORD dst_unused:UNUSED_PAD src0_sel:BYTE_0 src1_sel:DWORD
	v_lshrrev_b16_e32 v19, 10, v0
	v_mul_lo_u16_e32 v0, 6, v19
	v_sub_u16_e32 v27, v8, v0
	v_mov_b32_e32 v15, 4
	v_lshlrev_b32_sdwa v0, v15, v27 dst_sel:DWORD dst_unused:UNUSED_PAD src0_sel:DWORD src1_sel:BYTE_0
	s_waitcnt lgkmcnt(0)
	; wave barrier
	s_waitcnt lgkmcnt(0)
	global_load_dwordx4 v[0:3], v0, s[10:11] offset:32
	v_lshlrev_b32_e32 v7, 1, v4
	v_mov_b32_e32 v8, 0
	v_lshlrev_b64 v[7:8], 3, v[7:8]
	v_mov_b32_e32 v9, s11
	v_add_co_u32_e64 v7, s[0:1], s10, v7
	v_addc_co_u32_e64 v8, s[0:1], v9, v8, s[0:1]
	global_load_dwordx4 v[7:10], v[7:8], off offset:32
	v_mul_lo_u16_sdwa v11, v31, s2 dst_sel:DWORD dst_unused:UNUSED_PAD src0_sel:BYTE_0 src1_sel:DWORD
	v_lshrrev_b16_e32 v28, 10, v11
	v_mul_lo_u16_e32 v11, 6, v28
	v_sub_u16_e32 v34, v31, v11
	ds_read2_b64 v[11:14], v32 offset0:48 offset1:56
	v_lshlrev_b32_sdwa v35, v15, v34 dst_sel:DWORD dst_unused:UNUSED_PAD src0_sel:DWORD src1_sel:BYTE_0
	ds_read_b64 v[15:16], v21 offset:256
	ds_read_b64 v[17:18], v32 offset:512
	ds_read_b64 v[25:26], v6
	v_cmp_lt_u32_e64 s[0:1], 5, v20
	v_lshlrev_b32_e32 v4, 3, v4
	s_waitcnt vmcnt(1) lgkmcnt(3)
	v_mul_f32_e32 v36, v3, v14
	v_mul_f32_e32 v3, v3, v13
	s_waitcnt lgkmcnt(2)
	v_mul_f32_e32 v37, v1, v16
	v_mul_f32_e32 v1, v1, v15
	v_fmac_f32_e32 v36, v2, v13
	v_fma_f32 v13, v2, v14, -v3
	v_fmac_f32_e32 v37, v0, v15
	v_fma_f32 v14, v0, v16, -v1
	ds_read2_b64 v[0:3], v32 offset0:24 offset1:40
	s_waitcnt vmcnt(0)
	v_mul_f32_e32 v15, v10, v12
	v_mul_f32_e32 v10, v10, v11
	v_fmac_f32_e32 v15, v9, v11
	v_fma_f32 v11, v9, v12, -v10
	s_waitcnt lgkmcnt(0)
	v_mul_f32_e32 v12, v8, v1
	v_mul_f32_e32 v8, v8, v0
	v_fmac_f32_e32 v12, v7, v0
	v_fma_f32 v0, v7, v1, -v8
	global_load_dwordx4 v[7:10], v35, s[10:11] offset:32
	s_waitcnt vmcnt(0)
	v_mul_f32_e32 v16, v8, v3
	v_mul_f32_e32 v1, v8, v2
	;; [unrolled: 1-line block ×3, first 2 shown]
	v_fmac_f32_e32 v16, v7, v2
	v_fma_f32 v38, v7, v3, -v1
	v_mul_f32_e32 v1, v17, v10
	v_add_f32_e32 v2, v12, v15
	v_fmac_f32_e32 v35, v17, v9
	v_fma_f32 v17, v18, v9, -v1
	v_add_f32_e32 v1, v25, v12
	v_sub_f32_e32 v3, v0, v11
	v_add_f32_e32 v8, v26, v0
	v_fma_f32 v25, -0.5, v2, v25
	v_add_f32_e32 v0, v0, v11
	v_mov_b32_e32 v9, v25
	v_fmac_f32_e32 v26, -0.5, v0
	v_add_f32_e32 v7, v1, v15
	v_fmac_f32_e32 v25, 0x3f5db3d7, v3
	v_fmac_f32_e32 v9, 0xbf5db3d7, v3
	v_add_f32_e32 v8, v8, v11
	v_sub_f32_e32 v11, v12, v15
	ds_read2_b64 v[0:3], v32 offset0:8 offset1:16
	v_mov_b32_e32 v10, v26
	v_fmac_f32_e32 v10, 0x3f5db3d7, v11
	v_fmac_f32_e32 v26, 0xbf5db3d7, v11
	v_mov_b32_e32 v11, 0x90
	v_cndmask_b32_e64 v11, 0, v11, s[0:1]
	v_add_u32_e32 v11, 0, v11
	v_add3_u32 v4, v11, v4, v5
	v_add_f32_e32 v11, v37, v36
	s_waitcnt lgkmcnt(0)
	; wave barrier
	s_waitcnt lgkmcnt(0)
	ds_write2_b64 v4, v[7:8], v[9:10] offset1:6
	v_fma_f32 v7, -0.5, v11, v0
	v_add_f32_e32 v0, v0, v37
	v_add_f32_e32 v11, v0, v36
	;; [unrolled: 1-line block ×3, first 2 shown]
	v_sub_f32_e32 v8, v14, v13
	v_mov_b32_e32 v9, v7
	v_add_f32_e32 v12, v0, v13
	v_add_f32_e32 v0, v14, v13
	v_fmac_f32_e32 v9, 0xbf5db3d7, v8
	v_fmac_f32_e32 v7, 0x3f5db3d7, v8
	v_fma_f32 v8, -0.5, v0, v1
	v_sub_f32_e32 v0, v37, v36
	v_mov_b32_e32 v10, v8
	v_fmac_f32_e32 v10, 0x3f5db3d7, v0
	v_fmac_f32_e32 v8, 0xbf5db3d7, v0
	v_add_f32_e32 v0, v16, v35
	v_add_f32_e32 v1, v2, v16
	v_fma_f32 v2, -0.5, v0, v2
	v_sub_f32_e32 v13, v38, v17
	v_mov_b32_e32 v0, v2
	v_fmac_f32_e32 v0, 0xbf5db3d7, v13
	v_fmac_f32_e32 v2, 0x3f5db3d7, v13
	v_add_f32_e32 v13, v1, v35
	v_add_f32_e32 v1, v3, v38
	;; [unrolled: 1-line block ×4, first 2 shown]
	v_fmac_f32_e32 v3, -0.5, v1
	v_sub_f32_e32 v15, v16, v35
	v_mov_b32_e32 v1, v3
	v_fmac_f32_e32 v1, 0x3f5db3d7, v15
	v_fmac_f32_e32 v3, 0xbf5db3d7, v15
	s_movk_i32 s0, 0x90
	v_mov_b32_e32 v15, 3
	ds_write_b64 v4, v[25:26] offset:96
	v_mad_u32_u24 v4, v19, s0, 0
	v_lshlrev_b32_sdwa v16, v15, v27 dst_sel:DWORD dst_unused:UNUSED_PAD src0_sel:DWORD src1_sel:BYTE_0
	v_add3_u32 v4, v4, v16, v5
	ds_write2_b64 v4, v[11:12], v[9:10] offset1:6
	ds_write_b64 v4, v[7:8] offset:96
	v_mad_u32_u24 v4, v28, s0, 0
	v_lshlrev_b32_sdwa v7, v15, v34 dst_sel:DWORD dst_unused:UNUSED_PAD src0_sel:DWORD src1_sel:BYTE_0
	v_add3_u32 v4, v4, v7, v5
	ds_write2_b64 v4, v[13:14], v[0:1] offset1:6
	ds_write_b64 v4, v[2:3] offset:96
	s_waitcnt lgkmcnt(0)
	; wave barrier
	s_waitcnt lgkmcnt(0)
	ds_read2_b64 v[8:11], v21 offset0:18 offset1:26
	ds_read2_b64 v[16:19], v21 offset0:36 offset1:44
	;; [unrolled: 1-line block ×3, first 2 shown]
	ds_read_b64 v[27:28], v6
	ds_read_b64 v[25:26], v32 offset:64
	v_cmp_gt_u32_e64 s[0:1], 2, v20
                                        ; implicit-def: $vgpr7
                                        ; implicit-def: $vgpr1
	s_and_saveexec_b64 s[2:3], s[0:1]
	s_cbranch_execz .LBB0_16
; %bb.15:
	ds_read2_b64 v[4:7], v21 offset0:34 offset1:52
	ds_read_b64 v[2:3], v32 offset:128
	ds_read_b64 v[0:1], v21 offset:560
	s_waitcnt lgkmcnt(2)
	v_mov_b32_e32 v24, v5
	v_mov_b32_e32 v23, v4
.LBB0_16:
	s_or_b64 exec, exec, s[2:3]
	v_mul_u32_u24_e32 v4, 3, v20
	v_lshlrev_b32_e32 v44, 3, v4
	global_load_dwordx4 v[34:37], v44, s[10:11] offset:128
	global_load_dwordx4 v[38:41], v44, s[10:11] offset:320
	global_load_dwordx2 v[4:5], v44, s[10:11] offset:144
	global_load_dwordx2 v[42:43], v44, s[10:11] offset:336
	v_lshl_add_u32 v30, v30, 3, v33
	v_cmp_gt_u32_e64 s[2:3], 18, v31
	s_waitcnt lgkmcnt(0)
	; wave barrier
	s_waitcnt vmcnt(3) lgkmcnt(0)
	v_mul_f32_e32 v33, v35, v9
	v_mul_f32_e32 v35, v35, v8
	;; [unrolled: 1-line block ×4, first 2 shown]
	s_waitcnt vmcnt(2)
	v_mul_f32_e32 v45, v39, v11
	v_mul_f32_e32 v39, v39, v10
	;; [unrolled: 1-line block ×4, first 2 shown]
	s_waitcnt vmcnt(1)
	v_mul_f32_e32 v47, v5, v13
	v_mul_f32_e32 v5, v5, v12
	v_fmac_f32_e32 v33, v34, v8
	v_fma_f32 v8, v34, v9, -v35
	v_fmac_f32_e32 v44, v36, v16
	v_fma_f32 v9, v36, v17, -v37
	s_waitcnt vmcnt(0)
	v_mul_f32_e32 v16, v43, v15
	v_mul_f32_e32 v17, v43, v14
	v_fmac_f32_e32 v45, v38, v10
	v_fma_f32 v10, v38, v11, -v39
	v_fmac_f32_e32 v46, v40, v18
	v_fma_f32 v11, v40, v19, -v41
	;; [unrolled: 2-line block ×4, first 2 shown]
	v_sub_f32_e32 v12, v27, v44
	v_sub_f32_e32 v13, v28, v9
	;; [unrolled: 1-line block ×8, first 2 shown]
	v_fma_f32 v17, v27, 2.0, -v12
	v_fma_f32 v18, v28, 2.0, -v13
	;; [unrolled: 1-line block ×8, first 2 shown]
	v_add_f32_e32 v4, v12, v4
	v_sub_f32_e32 v5, v13, v9
	v_add_f32_e32 v16, v14, v16
	v_sub_f32_e32 v34, v15, v11
	v_sub_f32_e32 v8, v17, v19
	;; [unrolled: 1-line block ×5, first 2 shown]
	v_fma_f32 v10, v12, 2.0, -v4
	v_fma_f32 v11, v13, 2.0, -v5
	;; [unrolled: 1-line block ×8, first 2 shown]
	ds_write2_b64 v21, v[8:9], v[4:5] offset0:36 offset1:54
	ds_write2_b64 v21, v[12:13], v[10:11] offset1:18
	ds_write_b64 v32, v[14:15] offset:64
	ds_write2_b32 v30, v28, v33 offset0:52 offset1:53
	ds_write2_b32 v30, v19, v27 offset0:88 offset1:89
	;; [unrolled: 1-line block ×3, first 2 shown]
	s_and_saveexec_b64 s[8:9], s[0:1]
	s_cbranch_execz .LBB0_18
; %bb.17:
	v_add_u32_e32 v4, -2, v20
	v_cndmask_b32_e64 v4, v4, v31, s[2:3]
	v_mul_i32_i24_e32 v4, 3, v4
	v_mov_b32_e32 v5, 0
	v_lshlrev_b64 v[4:5], 3, v[4:5]
	v_mov_b32_e32 v8, s11
	v_add_co_u32_e64 v4, s[0:1], s10, v4
	v_addc_co_u32_e64 v5, s[0:1], v8, v5, s[0:1]
	global_load_dwordx4 v[8:11], v[4:5], off offset:128
	global_load_dwordx2 v[12:13], v[4:5], off offset:144
	s_waitcnt vmcnt(1)
	v_mul_f32_e32 v4, v6, v11
	v_mul_f32_e32 v5, v24, v9
	s_waitcnt vmcnt(0)
	v_mul_f32_e32 v14, v1, v13
	v_mul_f32_e32 v11, v7, v11
	;; [unrolled: 1-line block ×4, first 2 shown]
	v_fma_f32 v4, v7, v10, -v4
	v_fmac_f32_e32 v5, v23, v8
	v_fmac_f32_e32 v14, v0, v12
	;; [unrolled: 1-line block ×3, first 2 shown]
	v_fma_f32 v6, v24, v8, -v9
	v_fma_f32 v0, v1, v12, -v13
	v_sub_f32_e32 v4, v3, v4
	v_sub_f32_e32 v7, v5, v14
	;; [unrolled: 1-line block ×5, first 2 shown]
	v_add_f32_e32 v0, v8, v9
	v_fma_f32 v10, v3, 2.0, -v4
	v_fma_f32 v6, v6, 2.0, -v9
	;; [unrolled: 1-line block ×5, first 2 shown]
	v_sub_f32_e32 v5, v10, v6
	v_sub_f32_e32 v4, v9, v7
	v_fma_f32 v7, v10, 2.0, -v5
	v_fma_f32 v6, v9, 2.0, -v4
	;; [unrolled: 1-line block ×3, first 2 shown]
	ds_write_b64 v32, v[6:7] offset:128
	ds_write2_b64 v21, v[2:3], v[4:5] offset0:34 offset1:52
	ds_write_b64 v21, v[0:1] offset:560
.LBB0_18:
	s_or_b64 exec, exec, s[8:9]
	s_waitcnt lgkmcnt(0)
	; wave barrier
	s_waitcnt lgkmcnt(0)
	s_and_saveexec_b64 s[0:1], vcc
	s_cbranch_execz .LBB0_20
; %bb.19:
	v_mad_u64_u32 v[4:5], s[0:1], s6, v22, 0
	s_load_dwordx2 s[0:1], s[4:5], 0x58
	v_mov_b32_e32 v21, 0
	v_mov_b32_e32 v0, v5
	v_mad_u64_u32 v[5:6], s[2:3], s7, v22, v[0:1]
	v_lshl_add_u32 v6, v20, 3, v29
	ds_read2_b64 v[0:3], v6 offset1:8
	v_lshlrev_b64 v[4:5], 3, v[4:5]
	s_waitcnt lgkmcnt(0)
	v_mov_b32_e32 v7, s1
	v_add_co_u32_e32 v8, vcc, s0, v4
	v_addc_co_u32_e32 v7, vcc, v7, v5, vcc
	v_lshlrev_b64 v[4:5], 3, v[20:21]
	v_add_co_u32_e32 v4, vcc, v8, v4
	v_addc_co_u32_e32 v5, vcc, v7, v5, vcc
	global_store_dwordx2 v[4:5], v[0:1], off
	v_add_u32_e32 v0, 8, v20
	v_mov_b32_e32 v1, v21
	v_lshlrev_b64 v[0:1], 3, v[0:1]
	v_add_u32_e32 v4, 16, v20
	v_add_co_u32_e32 v0, vcc, v8, v0
	v_addc_co_u32_e32 v1, vcc, v7, v1, vcc
	global_store_dwordx2 v[0:1], v[2:3], off
	v_mov_b32_e32 v5, v21
	ds_read2_b64 v[0:3], v6 offset0:16 offset1:24
	v_lshlrev_b64 v[4:5], 3, v[4:5]
	v_add_co_u32_e32 v4, vcc, v8, v4
	v_addc_co_u32_e32 v5, vcc, v7, v5, vcc
	s_waitcnt lgkmcnt(0)
	global_store_dwordx2 v[4:5], v[0:1], off
	v_add_u32_e32 v0, 24, v20
	v_mov_b32_e32 v1, v21
	v_lshlrev_b64 v[0:1], 3, v[0:1]
	v_add_u32_e32 v4, 32, v20
	v_add_co_u32_e32 v0, vcc, v8, v0
	v_addc_co_u32_e32 v1, vcc, v7, v1, vcc
	global_store_dwordx2 v[0:1], v[2:3], off
	v_mov_b32_e32 v5, v21
	ds_read2_b64 v[0:3], v6 offset0:32 offset1:40
	v_lshlrev_b64 v[4:5], 3, v[4:5]
	v_add_co_u32_e32 v4, vcc, v8, v4
	v_addc_co_u32_e32 v5, vcc, v7, v5, vcc
	s_waitcnt lgkmcnt(0)
	global_store_dwordx2 v[4:5], v[0:1], off
	v_add_u32_e32 v0, 40, v20
	v_mov_b32_e32 v1, v21
	v_lshlrev_b64 v[0:1], 3, v[0:1]
	v_add_u32_e32 v4, 48, v20
	v_add_co_u32_e32 v0, vcc, v8, v0
	v_addc_co_u32_e32 v1, vcc, v7, v1, vcc
	global_store_dwordx2 v[0:1], v[2:3], off
	v_mov_b32_e32 v5, v21
	ds_read2_b64 v[0:3], v6 offset0:48 offset1:56
	v_lshlrev_b64 v[4:5], 3, v[4:5]
	v_add_co_u32_e32 v4, vcc, v8, v4
	v_addc_co_u32_e32 v5, vcc, v7, v5, vcc
	s_waitcnt lgkmcnt(0)
	global_store_dwordx2 v[4:5], v[0:1], off
	v_add_u32_e32 v0, 56, v20
	v_mov_b32_e32 v1, v21
	v_lshlrev_b64 v[0:1], 3, v[0:1]
	v_add_u32_e32 v20, 64, v20
	v_add_co_u32_e32 v0, vcc, v8, v0
	v_addc_co_u32_e32 v1, vcc, v7, v1, vcc
	global_store_dwordx2 v[0:1], v[2:3], off
	ds_read_b64 v[0:1], v6 offset:512
	v_lshlrev_b64 v[2:3], 3, v[20:21]
	v_add_co_u32_e32 v2, vcc, v8, v2
	v_addc_co_u32_e32 v3, vcc, v7, v3, vcc
	s_waitcnt lgkmcnt(0)
	global_store_dwordx2 v[2:3], v[0:1], off
.LBB0_20:
	s_endpgm
	.section	.rodata,"a",@progbits
	.p2align	6, 0x0
	.amdhsa_kernel fft_rtc_back_len72_factors_2_3_3_4_wgs_64_tpt_8_dim1_sp_op_CI_CI_unitstride_sbrr_C2R_dirReg
		.amdhsa_group_segment_fixed_size 0
		.amdhsa_private_segment_fixed_size 0
		.amdhsa_kernarg_size 96
		.amdhsa_user_sgpr_count 6
		.amdhsa_user_sgpr_private_segment_buffer 1
		.amdhsa_user_sgpr_dispatch_ptr 0
		.amdhsa_user_sgpr_queue_ptr 0
		.amdhsa_user_sgpr_kernarg_segment_ptr 1
		.amdhsa_user_sgpr_dispatch_id 0
		.amdhsa_user_sgpr_flat_scratch_init 0
		.amdhsa_user_sgpr_private_segment_size 0
		.amdhsa_uses_dynamic_stack 0
		.amdhsa_system_sgpr_private_segment_wavefront_offset 0
		.amdhsa_system_sgpr_workgroup_id_x 1
		.amdhsa_system_sgpr_workgroup_id_y 0
		.amdhsa_system_sgpr_workgroup_id_z 0
		.amdhsa_system_sgpr_workgroup_info 0
		.amdhsa_system_vgpr_workitem_id 0
		.amdhsa_next_free_vgpr 48
		.amdhsa_next_free_sgpr 14
		.amdhsa_reserve_vcc 1
		.amdhsa_reserve_flat_scratch 0
		.amdhsa_float_round_mode_32 0
		.amdhsa_float_round_mode_16_64 0
		.amdhsa_float_denorm_mode_32 3
		.amdhsa_float_denorm_mode_16_64 3
		.amdhsa_dx10_clamp 1
		.amdhsa_ieee_mode 1
		.amdhsa_fp16_overflow 0
		.amdhsa_exception_fp_ieee_invalid_op 0
		.amdhsa_exception_fp_denorm_src 0
		.amdhsa_exception_fp_ieee_div_zero 0
		.amdhsa_exception_fp_ieee_overflow 0
		.amdhsa_exception_fp_ieee_underflow 0
		.amdhsa_exception_fp_ieee_inexact 0
		.amdhsa_exception_int_div_zero 0
	.end_amdhsa_kernel
	.text
.Lfunc_end0:
	.size	fft_rtc_back_len72_factors_2_3_3_4_wgs_64_tpt_8_dim1_sp_op_CI_CI_unitstride_sbrr_C2R_dirReg, .Lfunc_end0-fft_rtc_back_len72_factors_2_3_3_4_wgs_64_tpt_8_dim1_sp_op_CI_CI_unitstride_sbrr_C2R_dirReg
                                        ; -- End function
	.section	.AMDGPU.csdata,"",@progbits
; Kernel info:
; codeLenInByte = 4072
; NumSgprs: 18
; NumVgprs: 48
; ScratchSize: 0
; MemoryBound: 0
; FloatMode: 240
; IeeeMode: 1
; LDSByteSize: 0 bytes/workgroup (compile time only)
; SGPRBlocks: 2
; VGPRBlocks: 11
; NumSGPRsForWavesPerEU: 18
; NumVGPRsForWavesPerEU: 48
; Occupancy: 5
; WaveLimiterHint : 1
; COMPUTE_PGM_RSRC2:SCRATCH_EN: 0
; COMPUTE_PGM_RSRC2:USER_SGPR: 6
; COMPUTE_PGM_RSRC2:TRAP_HANDLER: 0
; COMPUTE_PGM_RSRC2:TGID_X_EN: 1
; COMPUTE_PGM_RSRC2:TGID_Y_EN: 0
; COMPUTE_PGM_RSRC2:TGID_Z_EN: 0
; COMPUTE_PGM_RSRC2:TIDIG_COMP_CNT: 0
	.type	__hip_cuid_e72b48f141289037,@object ; @__hip_cuid_e72b48f141289037
	.section	.bss,"aw",@nobits
	.globl	__hip_cuid_e72b48f141289037
__hip_cuid_e72b48f141289037:
	.byte	0                               ; 0x0
	.size	__hip_cuid_e72b48f141289037, 1

	.ident	"AMD clang version 19.0.0git (https://github.com/RadeonOpenCompute/llvm-project roc-6.4.0 25133 c7fe45cf4b819c5991fe208aaa96edf142730f1d)"
	.section	".note.GNU-stack","",@progbits
	.addrsig
	.addrsig_sym __hip_cuid_e72b48f141289037
	.amdgpu_metadata
---
amdhsa.kernels:
  - .args:
      - .actual_access:  read_only
        .address_space:  global
        .offset:         0
        .size:           8
        .value_kind:     global_buffer
      - .actual_access:  read_only
        .address_space:  global
        .offset:         8
        .size:           8
        .value_kind:     global_buffer
      - .actual_access:  read_only
        .address_space:  global
        .offset:         16
        .size:           8
        .value_kind:     global_buffer
      - .actual_access:  read_only
        .address_space:  global
        .offset:         24
        .size:           8
        .value_kind:     global_buffer
      - .offset:         32
        .size:           8
        .value_kind:     by_value
      - .actual_access:  read_only
        .address_space:  global
        .offset:         40
        .size:           8
        .value_kind:     global_buffer
      - .actual_access:  read_only
        .address_space:  global
        .offset:         48
        .size:           8
        .value_kind:     global_buffer
      - .offset:         56
        .size:           4
        .value_kind:     by_value
      - .actual_access:  read_only
        .address_space:  global
        .offset:         64
        .size:           8
        .value_kind:     global_buffer
      - .actual_access:  read_only
        .address_space:  global
        .offset:         72
        .size:           8
        .value_kind:     global_buffer
      - .actual_access:  read_only
        .address_space:  global
        .offset:         80
        .size:           8
        .value_kind:     global_buffer
      - .actual_access:  write_only
        .address_space:  global
        .offset:         88
        .size:           8
        .value_kind:     global_buffer
    .group_segment_fixed_size: 0
    .kernarg_segment_align: 8
    .kernarg_segment_size: 96
    .language:       OpenCL C
    .language_version:
      - 2
      - 0
    .max_flat_workgroup_size: 64
    .name:           fft_rtc_back_len72_factors_2_3_3_4_wgs_64_tpt_8_dim1_sp_op_CI_CI_unitstride_sbrr_C2R_dirReg
    .private_segment_fixed_size: 0
    .sgpr_count:     18
    .sgpr_spill_count: 0
    .symbol:         fft_rtc_back_len72_factors_2_3_3_4_wgs_64_tpt_8_dim1_sp_op_CI_CI_unitstride_sbrr_C2R_dirReg.kd
    .uniform_work_group_size: 1
    .uses_dynamic_stack: false
    .vgpr_count:     48
    .vgpr_spill_count: 0
    .wavefront_size: 64
amdhsa.target:   amdgcn-amd-amdhsa--gfx906
amdhsa.version:
  - 1
  - 2
...

	.end_amdgpu_metadata
